;; amdgpu-corpus repo=zjin-lcf/HeCBench kind=compiled arch=gfx906 opt=O3
	.amdgcn_target "amdgcn-amd-amdhsa--gfx906"
	.amdhsa_code_object_version 6
	.text
	.protected	_Z9hotspot3dPKfS0_Pfiiiffffffff ; -- Begin function _Z9hotspot3dPKfS0_Pfiiiffffffff
	.globl	_Z9hotspot3dPKfS0_Pfiiiffffffff
	.p2align	8
	.type	_Z9hotspot3dPKfS0_Pfiiiffffffff,@function
_Z9hotspot3dPKfS0_Pfiiiffffffff:        ; @_Z9hotspot3dPKfS0_Pfiiiffffffff
; %bb.0:
	s_load_dword s0, s[4:5], 0x54
	s_load_dwordx8 s[8:15], s[4:5], 0x18
	s_load_dwordx4 s[16:19], s[4:5], 0x0
	s_load_dwordx2 s[24:25], s[4:5], 0x10
	s_load_dwordx4 s[20:23], s[4:5], 0x38
	s_waitcnt lgkmcnt(0)
	s_lshr_b32 s1, s0, 16
	s_mul_i32 s7, s7, s1
	v_add_u32_e32 v17, s7, v1
	v_mul_lo_u32 v2, v17, s8
	s_and_b32 s0, s0, 0xffff
	s_mul_i32 s2, s6, s0
	v_add_u32_e32 v16, s2, v0
	v_add_u32_e32 v1, v2, v16
	v_add_u32_e32 v3, -1, v1
	v_cmp_eq_u32_e32 vcc, 0, v16
	v_cndmask_b32_e32 v4, v3, v2, vcc
	v_subrev_u32_e32 v2, s8, v1
	v_cmp_eq_u32_e32 vcc, 0, v17
	v_cndmask_b32_e32 v6, v2, v16, vcc
	v_ashrrev_i32_e32 v2, 31, v1
	v_lshlrev_b64 v[8:9], 2, v[1:2]
	v_ashrrev_i32_e32 v5, 31, v4
	v_mov_b32_e32 v15, s17
	v_add_co_u32_e32 v2, vcc, s16, v8
	v_lshlrev_b64 v[10:11], 2, v[4:5]
	v_addc_co_u32_e32 v3, vcc, v15, v9, vcc
	v_ashrrev_i32_e32 v7, 31, v6
	v_add_co_u32_e32 v10, vcc, s16, v10
	v_lshlrev_b64 v[12:13], 2, v[6:7]
	v_addc_co_u32_e32 v11, vcc, v15, v11, vcc
	v_add_co_u32_e32 v14, vcc, s16, v12
	v_addc_co_u32_e32 v15, vcc, v15, v13, vcc
	v_mov_b32_e32 v5, s19
	v_add_co_u32_e32 v18, vcc, s18, v8
	v_addc_co_u32_e32 v19, vcc, v5, v9, vcc
	s_add_i32 s0, s9, -1
	v_mov_b32_e32 v5, s8
	v_cmp_ne_u32_e32 vcc, s0, v17
	v_cndmask_b32_e32 v20, 0, v5, vcc
	v_ashrrev_i32_e32 v21, 31, v20
	v_lshlrev_b64 v[12:13], 2, v[20:21]
	s_add_i32 s0, s8, -1
	v_add_co_u32_e32 v21, vcc, v2, v12
	v_addc_co_u32_e32 v22, vcc, v3, v13, vcc
	v_cmp_ne_u32_e32 vcc, s0, v16
	v_cndmask_b32_e64 v7, 0, 1, vcc
	s_mul_i32 s6, s9, s8
	v_lshlrev_b32_e32 v7, 2, v7
	s_ashr_i32 s7, s6, 31
	v_add_co_u32_e64 v23, s[0:1], v2, v7
	s_lshl_b64 s[26:27], s[6:7], 2
	v_addc_co_u32_e64 v24, s[0:1], 0, v3, s[0:1]
	global_load_dword v16, v[10:11], off
	global_load_dword v13, v[2:3], off
	;; [unrolled: 1-line block ×5, first 2 shown]
	v_mov_b32_e32 v5, s27
	v_add_co_u32_e64 v2, s[0:1], s26, v2
	v_addc_co_u32_e64 v3, s[0:1], v3, v5, s[0:1]
	global_load_dword v12, v[2:3], off
	global_load_dword v10, v[18:19], off
	v_add_u32_e32 v3, s6, v6
	v_mov_b32_e32 v2, s6
	v_addc_co_u32_e32 v7, vcc, v1, v2, vcc
	v_mov_b32_e32 v14, 0x42a00000
	v_mov_b32_e32 v15, s25
	v_add_co_u32_e32 v8, vcc, s24, v8
	v_add_u32_e32 v1, s6, v1
	v_addc_co_u32_e32 v9, vcc, v15, v9, vcc
	s_mov_b32 s23, 0
	v_mul_f32_e32 v11, s15, v14
	s_cmp_lt_i32 s10, 3
	v_ashrrev_i32_e32 v2, 31, v1
	v_add_u32_e32 v5, v1, v20
	s_waitcnt vmcnt(6)
	v_mul_f32_e32 v6, s12, v16
	s_waitcnt vmcnt(5)
	v_fmac_f32_e32 v6, s21, v13
	s_waitcnt vmcnt(4)
	v_fmac_f32_e32 v6, s11, v25
	s_waitcnt vmcnt(3)
	v_fmac_f32_e32 v6, s14, v26
	s_waitcnt vmcnt(2)
	v_fmac_f32_e32 v6, s13, v27
	v_fmac_f32_e32 v6, s20, v13
	s_waitcnt vmcnt(1)
	v_fmac_f32_e32 v6, s15, v12
	s_waitcnt vmcnt(0)
	v_fmac_f32_e32 v6, s22, v10
	v_fmac_f32_e32 v6, s15, v14
	global_store_dword v[8:9], v6, off
	v_add_u32_e32 v9, s6, v4
	s_cbranch_scc1 .LBB0_4
; %bb.1:
	v_ashrrev_i32_e32 v10, 31, v9
	v_lshlrev_b64 v[14:15], 2, v[9:10]
	v_mov_b32_e32 v4, s17
	v_add_co_u32_e32 v10, vcc, s16, v14
	v_ashrrev_i32_e32 v8, 31, v7
	v_addc_co_u32_e32 v14, vcc, v4, v15, vcc
	v_lshlrev_b64 v[15:16], 2, v[7:8]
	v_mov_b32_e32 v6, s17
	v_add_co_u32_e32 v8, vcc, s16, v15
	v_addc_co_u32_e32 v15, vcc, v4, v16, vcc
	v_ashrrev_i32_e32 v4, 31, v3
	v_lshlrev_b64 v[18:19], 2, v[3:4]
	v_mov_b32_e32 v20, s17
	v_add_co_u32_e32 v4, vcc, s16, v18
	v_addc_co_u32_e32 v16, vcc, v6, v19, vcc
	v_ashrrev_i32_e32 v6, 31, v5
	v_lshlrev_b64 v[18:19], 2, v[5:6]
	v_lshl_add_u32 v6, s9, 1, v17
	v_mul_lo_u32 v21, s8, v6
	v_add_co_u32_e32 v6, vcc, s16, v18
	v_addc_co_u32_e32 v17, vcc, v20, v19, vcc
	v_add3_u32 v18, v0, v21, s2
	v_ashrrev_i32_e32 v19, 31, v18
	v_mov_b32_e32 v0, s7
	v_subrev_co_u32_e32 v23, vcc, s6, v18
	v_subb_co_u32_e32 v24, vcc, v19, v0, vcc
	v_lshlrev_b64 v[18:19], 2, v[18:19]
	v_lshlrev_b64 v[1:2], 2, v[1:2]
	v_add_co_u32_e32 v0, vcc, s16, v18
	v_addc_co_u32_e32 v18, vcc, v20, v19, vcc
	v_mov_b32_e32 v20, s19
	v_add_co_u32_e32 v19, vcc, s18, v1
	v_addc_co_u32_e32 v20, vcc, v20, v2, vcc
	v_mov_b32_e32 v22, s25
	;; [unrolled: 3-line block ×3, first 2 shown]
	s_add_i32 s10, s10, -2
	s_mov_b64 s[8:9], 0
	v_mov_b32_e32 v2, v24
.LBB0_2:                                ; =>This Inner Loop Header: Depth=1
	v_mov_b32_e32 v31, s9
	v_add_co_u32_e32 v24, vcc, s8, v10
	v_add_co_u32_e64 v29, s[4:5], s8, v0
	v_addc_co_u32_e64 v30, s[4:5], v18, v31, s[4:5]
	v_addc_co_u32_e32 v25, vcc, v14, v31, vcc
	v_mov_b32_e32 v23, v12
	v_add_co_u32_e64 v26, s[0:1], s8, v6
	global_load_dword v12, v[29:30], off
	global_load_dword v32, v[24:25], off
	v_add_co_u32_e32 v24, vcc, s8, v8
	v_addc_co_u32_e32 v25, vcc, v15, v31, vcc
	v_addc_co_u32_e64 v27, vcc, v17, v31, s[0:1]
	global_load_dword v30, v[24:25], off
	s_nop 0
	global_load_dword v26, v[26:27], off
	v_add_co_u32_e32 v24, vcc, s8, v4
	v_addc_co_u32_e32 v25, vcc, v16, v31, vcc
	global_load_dword v27, v[24:25], off
	v_add_co_u32_e64 v28, s[2:3], s8, v19
	v_addc_co_u32_e64 v29, vcc, v20, v31, s[2:3]
	global_load_dword v28, v[28:29], off
	v_add_co_u32_e32 v24, vcc, s8, v21
	v_addc_co_u32_e32 v25, vcc, v22, v31, vcc
	v_mov_b32_e32 v29, s7
	v_add_co_u32_e32 v1, vcc, s6, v1
	v_addc_co_u32_e32 v2, vcc, v2, v29, vcc
	s_add_i32 s23, s23, s6
	s_add_u32 s8, s8, s26
	s_addc_u32 s9, s9, s27
	s_add_i32 s10, s10, -1
	s_cmp_eq_u32 s10, 0
	s_waitcnt vmcnt(4)
	v_mul_f32_e32 v29, s12, v32
	v_fmac_f32_e32 v29, s21, v23
	s_waitcnt vmcnt(3)
	v_fmac_f32_e32 v29, s11, v30
	s_waitcnt vmcnt(2)
	;; [unrolled: 2-line block ×3, first 2 shown]
	v_fmac_f32_e32 v29, s13, v27
	v_fmac_f32_e32 v29, s20, v13
	;; [unrolled: 1-line block ×3, first 2 shown]
	v_mov_b32_e32 v13, v23
	s_waitcnt vmcnt(0)
	v_fmac_f32_e32 v29, s22, v28
	v_add_f32_e32 v26, v11, v29
	global_store_dword v[24:25], v26, off
	s_cbranch_scc0 .LBB0_2
; %bb.3:
	v_mul_f32_e32 v0, s15, v12
	v_add_u32_e32 v5, s23, v5
	v_add_u32_e32 v3, s23, v3
	v_add_u32_e32 v7, s23, v7
	v_add_u32_e32 v9, s23, v9
	v_mul_f32_e32 v13, s20, v23
	s_branch .LBB0_5
.LBB0_4:
	v_mul_f32_e32 v13, s20, v13
	v_mul_f32_e32 v0, s15, v12
.LBB0_5:
	v_ashrrev_i32_e32 v10, 31, v9
	v_lshlrev_b64 v[8:9], 2, v[9:10]
	v_mov_b32_e32 v4, s17
	v_add_co_u32_e32 v14, vcc, s16, v8
	v_ashrrev_i32_e32 v8, 31, v7
	v_lshlrev_b64 v[6:7], 2, v[7:8]
	v_addc_co_u32_e32 v15, vcc, v4, v9, vcc
	v_add_co_u32_e32 v8, vcc, s16, v6
	v_ashrrev_i32_e32 v6, 31, v5
	v_addc_co_u32_e32 v9, vcc, v4, v7, vcc
	v_lshlrev_b64 v[4:5], 2, v[5:6]
	v_mov_b32_e32 v7, s17
	v_add_co_u32_e32 v6, vcc, s16, v4
	v_ashrrev_i32_e32 v4, 31, v3
	v_lshlrev_b64 v[3:4], 2, v[3:4]
	v_addc_co_u32_e32 v7, vcc, v7, v5, vcc
	v_mov_b32_e32 v5, s17
	v_add_co_u32_e32 v3, vcc, s16, v3
	v_addc_co_u32_e32 v4, vcc, v5, v4, vcc
	global_load_dword v5, v[14:15], off
	global_load_dword v10, v[8:9], off
	;; [unrolled: 1-line block ×4, first 2 shown]
	v_lshlrev_b64 v[1:2], 2, v[1:2]
	v_mov_b32_e32 v4, s19
	v_add_co_u32_e32 v3, vcc, s18, v1
	v_addc_co_u32_e32 v4, vcc, v4, v2, vcc
	global_load_dword v3, v[3:4], off
	v_mov_b32_e32 v4, s25
	s_waitcnt vmcnt(4)
	v_mul_f32_e32 v5, s12, v5
	v_fmac_f32_e32 v5, s21, v12
	s_waitcnt vmcnt(3)
	v_fmac_f32_e32 v5, s11, v10
	s_waitcnt vmcnt(2)
	;; [unrolled: 2-line block ×3, first 2 shown]
	v_fmac_f32_e32 v5, s13, v17
	v_add_f32_e32 v5, v13, v5
	v_add_f32_e32 v0, v0, v5
	s_waitcnt vmcnt(0)
	v_fmac_f32_e32 v0, s22, v3
	v_add_f32_e32 v3, v11, v0
	v_add_co_u32_e32 v0, vcc, s24, v1
	v_addc_co_u32_e32 v1, vcc, v4, v2, vcc
	global_store_dword v[0:1], v3, off
	s_endpgm
	.section	.rodata,"a",@progbits
	.p2align	6, 0x0
	.amdhsa_kernel _Z9hotspot3dPKfS0_Pfiiiffffffff
		.amdhsa_group_segment_fixed_size 0
		.amdhsa_private_segment_fixed_size 0
		.amdhsa_kernarg_size 328
		.amdhsa_user_sgpr_count 6
		.amdhsa_user_sgpr_private_segment_buffer 1
		.amdhsa_user_sgpr_dispatch_ptr 0
		.amdhsa_user_sgpr_queue_ptr 0
		.amdhsa_user_sgpr_kernarg_segment_ptr 1
		.amdhsa_user_sgpr_dispatch_id 0
		.amdhsa_user_sgpr_flat_scratch_init 0
		.amdhsa_user_sgpr_private_segment_size 0
		.amdhsa_uses_dynamic_stack 0
		.amdhsa_system_sgpr_private_segment_wavefront_offset 0
		.amdhsa_system_sgpr_workgroup_id_x 1
		.amdhsa_system_sgpr_workgroup_id_y 1
		.amdhsa_system_sgpr_workgroup_id_z 0
		.amdhsa_system_sgpr_workgroup_info 0
		.amdhsa_system_vgpr_workitem_id 1
		.amdhsa_next_free_vgpr 33
		.amdhsa_next_free_sgpr 28
		.amdhsa_reserve_vcc 1
		.amdhsa_reserve_flat_scratch 0
		.amdhsa_float_round_mode_32 0
		.amdhsa_float_round_mode_16_64 0
		.amdhsa_float_denorm_mode_32 3
		.amdhsa_float_denorm_mode_16_64 3
		.amdhsa_dx10_clamp 1
		.amdhsa_ieee_mode 1
		.amdhsa_fp16_overflow 0
		.amdhsa_exception_fp_ieee_invalid_op 0
		.amdhsa_exception_fp_denorm_src 0
		.amdhsa_exception_fp_ieee_div_zero 0
		.amdhsa_exception_fp_ieee_overflow 0
		.amdhsa_exception_fp_ieee_underflow 0
		.amdhsa_exception_fp_ieee_inexact 0
		.amdhsa_exception_int_div_zero 0
	.end_amdhsa_kernel
	.text
.Lfunc_end0:
	.size	_Z9hotspot3dPKfS0_Pfiiiffffffff, .Lfunc_end0-_Z9hotspot3dPKfS0_Pfiiiffffffff
                                        ; -- End function
	.set _Z9hotspot3dPKfS0_Pfiiiffffffff.num_vgpr, 33
	.set _Z9hotspot3dPKfS0_Pfiiiffffffff.num_agpr, 0
	.set _Z9hotspot3dPKfS0_Pfiiiffffffff.numbered_sgpr, 28
	.set _Z9hotspot3dPKfS0_Pfiiiffffffff.num_named_barrier, 0
	.set _Z9hotspot3dPKfS0_Pfiiiffffffff.private_seg_size, 0
	.set _Z9hotspot3dPKfS0_Pfiiiffffffff.uses_vcc, 1
	.set _Z9hotspot3dPKfS0_Pfiiiffffffff.uses_flat_scratch, 0
	.set _Z9hotspot3dPKfS0_Pfiiiffffffff.has_dyn_sized_stack, 0
	.set _Z9hotspot3dPKfS0_Pfiiiffffffff.has_recursion, 0
	.set _Z9hotspot3dPKfS0_Pfiiiffffffff.has_indirect_call, 0
	.section	.AMDGPU.csdata,"",@progbits
; Kernel info:
; codeLenInByte = 1188
; TotalNumSgprs: 32
; NumVgprs: 33
; ScratchSize: 0
; MemoryBound: 0
; FloatMode: 240
; IeeeMode: 1
; LDSByteSize: 0 bytes/workgroup (compile time only)
; SGPRBlocks: 3
; VGPRBlocks: 8
; NumSGPRsForWavesPerEU: 32
; NumVGPRsForWavesPerEU: 33
; Occupancy: 7
; WaveLimiterHint : 0
; COMPUTE_PGM_RSRC2:SCRATCH_EN: 0
; COMPUTE_PGM_RSRC2:USER_SGPR: 6
; COMPUTE_PGM_RSRC2:TRAP_HANDLER: 0
; COMPUTE_PGM_RSRC2:TGID_X_EN: 1
; COMPUTE_PGM_RSRC2:TGID_Y_EN: 1
; COMPUTE_PGM_RSRC2:TGID_Z_EN: 0
; COMPUTE_PGM_RSRC2:TIDIG_COMP_CNT: 1
	.section	.AMDGPU.gpr_maximums,"",@progbits
	.set amdgpu.max_num_vgpr, 0
	.set amdgpu.max_num_agpr, 0
	.set amdgpu.max_num_sgpr, 0
	.section	.AMDGPU.csdata,"",@progbits
	.type	__hip_cuid_708abffa794091a3,@object ; @__hip_cuid_708abffa794091a3
	.section	.bss,"aw",@nobits
	.globl	__hip_cuid_708abffa794091a3
__hip_cuid_708abffa794091a3:
	.byte	0                               ; 0x0
	.size	__hip_cuid_708abffa794091a3, 1

	.ident	"AMD clang version 22.0.0git (https://github.com/RadeonOpenCompute/llvm-project roc-7.2.4 26084 f58b06dce1f9c15707c5f808fd002e18c2accf7e)"
	.section	".note.GNU-stack","",@progbits
	.addrsig
	.addrsig_sym __hip_cuid_708abffa794091a3
	.amdgpu_metadata
---
amdhsa.kernels:
  - .args:
      - .actual_access:  read_only
        .address_space:  global
        .offset:         0
        .size:           8
        .value_kind:     global_buffer
      - .actual_access:  read_only
        .address_space:  global
        .offset:         8
        .size:           8
        .value_kind:     global_buffer
      - .actual_access:  write_only
        .address_space:  global
        .offset:         16
        .size:           8
        .value_kind:     global_buffer
      - .offset:         24
        .size:           4
        .value_kind:     by_value
      - .offset:         28
        .size:           4
        .value_kind:     by_value
      - .offset:         32
        .size:           4
        .value_kind:     by_value
      - .offset:         36
        .size:           4
        .value_kind:     by_value
      - .offset:         40
        .size:           4
        .value_kind:     by_value
      - .offset:         44
        .size:           4
        .value_kind:     by_value
      - .offset:         48
        .size:           4
        .value_kind:     by_value
      - .offset:         52
        .size:           4
        .value_kind:     by_value
      - .offset:         56
        .size:           4
        .value_kind:     by_value
      - .offset:         60
        .size:           4
        .value_kind:     by_value
      - .offset:         64
        .size:           4
        .value_kind:     by_value
      - .offset:         72
        .size:           4
        .value_kind:     hidden_block_count_x
      - .offset:         76
        .size:           4
        .value_kind:     hidden_block_count_y
      - .offset:         80
        .size:           4
        .value_kind:     hidden_block_count_z
      - .offset:         84
        .size:           2
        .value_kind:     hidden_group_size_x
      - .offset:         86
        .size:           2
        .value_kind:     hidden_group_size_y
      - .offset:         88
        .size:           2
        .value_kind:     hidden_group_size_z
      - .offset:         90
        .size:           2
        .value_kind:     hidden_remainder_x
      - .offset:         92
        .size:           2
        .value_kind:     hidden_remainder_y
      - .offset:         94
        .size:           2
        .value_kind:     hidden_remainder_z
      - .offset:         112
        .size:           8
        .value_kind:     hidden_global_offset_x
      - .offset:         120
        .size:           8
        .value_kind:     hidden_global_offset_y
      - .offset:         128
        .size:           8
        .value_kind:     hidden_global_offset_z
      - .offset:         136
        .size:           2
        .value_kind:     hidden_grid_dims
    .group_segment_fixed_size: 0
    .kernarg_segment_align: 8
    .kernarg_segment_size: 328
    .language:       OpenCL C
    .language_version:
      - 2
      - 0
    .max_flat_workgroup_size: 1024
    .name:           _Z9hotspot3dPKfS0_Pfiiiffffffff
    .private_segment_fixed_size: 0
    .sgpr_count:     32
    .sgpr_spill_count: 0
    .symbol:         _Z9hotspot3dPKfS0_Pfiiiffffffff.kd
    .uniform_work_group_size: 1
    .uses_dynamic_stack: false
    .vgpr_count:     33
    .vgpr_spill_count: 0
    .wavefront_size: 64
amdhsa.target:   amdgcn-amd-amdhsa--gfx906
amdhsa.version:
  - 1
  - 2
...

	.end_amdgpu_metadata
